;; amdgpu-corpus repo=tuanlda78202/gpt-oss-amd kind=compiled arch=gfx1250 opt=O3
	.amdgcn_target "amdgcn-amd-amdhsa--gfx1250"
	.amdhsa_code_object_version 6
	.text
	.protected	_Z14rope_qk_kernelPfPviiiiiiiPKiiS2_xfffffPKxS2_S2_ ; -- Begin function _Z14rope_qk_kernelPfPviiiiiiiPKiiS2_xfffffPKxS2_S2_
	.globl	_Z14rope_qk_kernelPfPviiiiiiiPKiiS2_xfffffPKxS2_S2_
	.p2align	8
	.type	_Z14rope_qk_kernelPfPviiiiiiiPKiiS2_xfffffPKxS2_S2_,@function
_Z14rope_qk_kernelPfPviiiiiiiPKiiS2_xfffffPKxS2_S2_: ; @_Z14rope_qk_kernelPfPviiiiiiiPKiiS2_xfffffPKxS2_S2_
; %bb.0:
	s_clause 0x1
	s_load_b128 s[12:15], s[0:1], 0x10
	s_load_b32 s2, s[0:1], 0x8c
	s_bfe_u32 s4, ttmp6, 0x4000c
	s_bfe_u32 s5, ttmp6, 0x40010
	s_add_co_i32 s4, s4, 1
	s_add_co_i32 s5, s5, 1
	s_and_b32 s3, ttmp6, 15
	s_bfe_u32 s6, ttmp6, 0x40004
	s_mul_i32 s4, ttmp9, s4
	s_mul_i32 s5, ttmp7, s5
	s_getreg_b32 s7, hwreg(HW_REG_IB_STS2, 6, 4)
	s_add_co_i32 s3, s3, s4
	s_add_co_i32 s6, s6, s5
	s_wait_kmcnt 0x0
	s_ashr_i32 s20, s15, 1
	s_and_b32 s2, s2, 0xffff
	s_cmp_eq_u32 s7, 0
	s_cselect_b32 s3, ttmp9, s3
	s_cselect_b32 s24, ttmp7, s6
	v_mad_u32 v0, s3, s2, v0
	s_cmp_lt_i32 s24, s12
	s_cselect_b32 s2, -1, 0
	s_delay_alu instid0(VALU_DEP_1) | instskip(SKIP_1) | instid1(SALU_CYCLE_1)
	v_cmp_gt_i32_e32 vcc_lo, s20, v0
	s_and_b32 s2, s2, vcc_lo
	s_and_saveexec_b32 s3, s2
	s_cbranch_execz .LBB0_20
; %bb.1:
	s_cvt_f32_i32 s11, s15
	s_clause 0x1
	s_load_b128 s[16:19], s[0:1], 0x50
	s_load_b64 s[2:3], s[0:1], 0x30
	s_ashr_i32 s25, s24, 31
	v_div_scale_f32 v1, null, s11, s11, -2.0
	v_div_scale_f32 v4, vcc_lo, -2.0, s11, -2.0
	s_lshl_b64 s[22:23], s[24:25], 2
	v_rcp_f32_e32 v2, v1
	v_nop
	v_xor_b32_e32 v1, 0x80000000, v1
	s_mov_b32 s26, 0x3e76c4e1
	s_delay_alu instid0(TRANS32_DEP_1) | instid1(VALU_DEP_1)
	v_fma_f32 v3, v1, v2, 1.0
	s_wait_kmcnt 0x0
	s_cmp_eq_f32 s16, 1.0
	s_delay_alu instid0(VALU_DEP_1) | instskip(SKIP_3) | instid1(VALU_DEP_1)
	v_fmac_f32_e32 v2, v3, v2
	s_add_nc_u64 s[2:3], s[2:3], s[22:23]
	s_cselect_b32 s21, -1, 0
	s_load_b32 s12, s[2:3], 0x0
	v_mul_f32_e32 v3, v4, v2
	s_cmp_ngt_f32 s17, 1.0
	s_delay_alu instid0(VALU_DEP_1) | instskip(NEXT) | instid1(VALU_DEP_1)
	v_fma_f32 v5, v1, v3, v4
	v_fmac_f32_e32 v3, v5, v2
	s_delay_alu instid0(VALU_DEP_1) | instskip(NEXT) | instid1(VALU_DEP_1)
	v_fmac_f32_e32 v4, v1, v3
	v_div_fmas_f32 v1, v4, v2, v3
	v_cvt_f32_i32_e32 v2, v0
	s_delay_alu instid0(VALU_DEP_2) | instskip(NEXT) | instid1(VALU_DEP_1)
	v_div_fixup_f32 v1, v1, s11, -2.0
	v_mul_f32_e32 v1, v1, v2
	s_delay_alu instid0(VALU_DEP_1) | instskip(NEXT) | instid1(VALU_DEP_1)
	v_cndmask_b32_e64 v1, v1, 1.0, s21
	v_cmp_neq_f32_e32 vcc_lo, 0, v1
	v_cmp_neq_f32_e64 s27, v1, |v1|
	s_wait_xcnt 0x0
	v_cmp_gt_f32_e64 s3, 0, v1
	v_cndmask_b32_e64 v3, 1.0, s16, vcc_lo
	s_delay_alu instid0(VALU_DEP_1)
	v_frexp_mant_f32_e64 v4, |v3|
	v_cmp_gt_f32_e64 s4, 0, v3
	v_cmp_lt_f32_e64 s28, |v3|, 1.0
	v_cmp_neq_f32_e64 s5, |v3|, 1.0
	v_cmp_eq_f32_e64 s2, 0, v3
	v_cmp_gt_f32_e32 vcc_lo, 0x3f2aaaab, v4
	v_cndmask_b32_e64 v5, 1.0, 2.0, vcc_lo
	s_delay_alu instid0(VALU_DEP_1) | instskip(NEXT) | instid1(VALU_DEP_1)
	v_mul_f32_e32 v4, v4, v5
	v_dual_add_f32 v7, 1.0, v4 :: v_dual_add_f32 v5, -1.0, v4
	s_delay_alu instid0(VALU_DEP_1)
	v_rcp_f32_e32 v10, v7
	v_add_f32_e32 v8, -1.0, v7
	s_delay_alu instid0(TRANS32_DEP_1) | instid1(VALU_DEP_1)
	v_dual_sub_f32 v4, v4, v8 :: v_dual_mul_f32 v11, v5, v10
	s_delay_alu instid0(VALU_DEP_1) | instskip(NEXT) | instid1(VALU_DEP_1)
	v_mul_f32_e32 v6, v7, v11
	v_fma_f32 v8, v11, v7, -v6
	s_delay_alu instid0(VALU_DEP_1) | instskip(NEXT) | instid1(VALU_DEP_1)
	v_fmac_f32_e32 v8, v11, v4
	v_add_f32_e32 v4, v6, v8
	s_delay_alu instid0(VALU_DEP_1) | instskip(NEXT) | instid1(VALU_DEP_1)
	v_dual_sub_f32 v7, v5, v4 :: v_dual_mov_b32 v9, v4
	v_pk_add_f32 v[4:5], v[4:5], v[6:7] neg_lo:[0,1] neg_hi:[0,1]
	s_delay_alu instid0(VALU_DEP_1) | instskip(NEXT) | instid1(VALU_DEP_1)
	v_pk_add_f32 v[4:5], v[4:5], v[8:9] neg_lo:[0,1] neg_hi:[0,1]
	v_add_f32_e32 v4, v4, v5
	s_delay_alu instid0(VALU_DEP_1) | instskip(NEXT) | instid1(VALU_DEP_1)
	v_add_f32_e32 v4, v7, v4
	v_mul_f32_e32 v5, v10, v4
	s_delay_alu instid0(VALU_DEP_1) | instskip(NEXT) | instid1(VALU_DEP_1)
	v_add_f32_e32 v4, v11, v5
	v_sub_f32_e32 v6, v4, v11
	s_delay_alu instid0(VALU_DEP_1) | instskip(NEXT) | instid1(VALU_DEP_1)
	v_sub_f32_e32 v16, v5, v6
	v_add_f32_e32 v6, v16, v16
	v_mul_f32_e32 v7, v4, v4
	s_delay_alu instid0(VALU_DEP_1) | instskip(NEXT) | instid1(VALU_DEP_1)
	v_fma_f32 v5, v4, v4, -v7
	v_fmac_f32_e32 v5, v4, v6
	s_delay_alu instid0(VALU_DEP_1) | instskip(NEXT) | instid1(VALU_DEP_1)
	v_add_f32_e32 v6, v7, v5
	v_dual_fmaak_f32 v8, s26, v6, 0x3e91f4c4 :: v_dual_sub_f32 v7, v6, v7
	s_delay_alu instid0(VALU_DEP_1) | instskip(SKIP_1) | instid1(VALU_DEP_2)
	v_fmaak_f32 v10, v6, v8, 0x3ecccdef
	v_cvt_f64_f32_e64 v[8:9], |v3|
	v_dual_mul_f32 v11, v6, v10 :: v_dual_sub_f32 v14, v5, v7
	s_delay_alu instid0(VALU_DEP_1) | instskip(NEXT) | instid1(VALU_DEP_1)
	v_fma_f32 v5, v6, v10, -v11
	v_fmac_f32_e32 v5, v14, v10
	s_delay_alu instid0(VALU_DEP_1) | instskip(NEXT) | instid1(VALU_DEP_1)
	v_add_f32_e32 v7, v11, v5
	v_sub_f32_e32 v10, v7, v11
	v_add_f32_e32 v11, 0x3f2aaaaa, v7
	s_delay_alu instid0(VALU_DEP_1) | instskip(SKIP_1) | instid1(VALU_DEP_2)
	v_dual_sub_f32 v5, v5, v10 :: v_dual_add_f32 v10, 0xbf2aaaaa, v11
	v_frexp_exp_i32_f64_e32 v15, v[8:9]
	v_sub_f32_e32 v7, v7, v10
	s_delay_alu instid0(VALU_DEP_3) | instskip(NEXT) | instid1(VALU_DEP_1)
	v_add_f32_e32 v5, 0x31739010, v5
	v_pk_mul_f32 v[8:9], v[4:5], v[6:7]
	s_delay_alu instid0(VALU_DEP_1) | instskip(NEXT) | instid1(VALU_DEP_1)
	v_fma_f32 v10, v6, v4, -v8
	v_fmac_f32_e32 v10, v6, v16
	s_delay_alu instid0(VALU_DEP_1) | instskip(SKIP_1) | instid1(VALU_DEP_1)
	v_fmac_f32_e32 v10, v14, v4
	v_pk_add_f32 v[12:13], v[4:5], v[6:7]
	v_mov_b32_e32 v9, v13
	v_subrev_co_ci_u32_e64 v5, null, 0, v15, vcc_lo
	s_delay_alu instid0(VALU_DEP_2) | instskip(NEXT) | instid1(VALU_DEP_2)
	v_pk_add_f32 v[6:7], v[8:9], v[10:11]
	v_cvt_f32_i32_e32 v5, v5
	s_delay_alu instid0(VALU_DEP_2) | instskip(NEXT) | instid1(VALU_DEP_3)
	v_mov_b32_e32 v12, v7
	v_dual_sub_f32 v9, v11, v7 :: v_dual_sub_f32 v11, v6, v8
	s_delay_alu instid0(VALU_DEP_2) | instskip(NEXT) | instid1(VALU_DEP_2)
	v_pk_mul_f32 v[14:15], v[6:7], v[12:13]
	v_dual_add_f32 v9, v13, v9 :: v_dual_sub_f32 v10, v10, v11
	s_delay_alu instid0(VALU_DEP_2) | instskip(NEXT) | instid1(VALU_DEP_1)
	v_fma_f32 v8, v6, v7, -v14
	v_fmac_f32_e32 v8, v6, v9
	s_delay_alu instid0(VALU_DEP_1) | instskip(SKIP_2) | instid1(VALU_DEP_3)
	v_fmac_f32_e32 v8, v10, v7
	v_mul_f32_e32 v12, 0x3f317218, v5
	v_ldexp_f32 v7, v4, 1
	v_add_f32_e32 v13, v14, v8
	s_delay_alu instid0(VALU_DEP_3) | instskip(NEXT) | instid1(VALU_DEP_2)
	v_fma_f32 v6, 0x3f317218, v5, -v12
	v_dual_mov_b32 v15, v7 :: v_dual_mov_b32 v9, v13
	s_delay_alu instid0(VALU_DEP_2) | instskip(SKIP_1) | instid1(VALU_DEP_2)
	v_fmac_f32_e32 v6, 0xb102e308, v5
	v_mov_b32_e32 v10, v13
	v_pk_add_f32 v[4:5], v[12:13], v[6:7]
	v_ldexp_f32 v7, v16, 1
	s_delay_alu instid0(VALU_DEP_2) | instskip(NEXT) | instid1(VALU_DEP_1)
	v_dual_mov_b32 v11, v5 :: v_dual_mov_b32 v18, v5
	v_pk_add_f32 v[10:11], v[10:11], v[14:15] neg_lo:[0,1] neg_hi:[0,1]
	s_delay_alu instid0(VALU_DEP_1) | instskip(NEXT) | instid1(VALU_DEP_1)
	v_pk_add_f32 v[8:9], v[8:9], v[10:11] neg_lo:[0,1] neg_hi:[0,1]
	v_add_f32_e32 v7, v7, v8
	s_delay_alu instid0(VALU_DEP_1) | instskip(NEXT) | instid1(VALU_DEP_1)
	v_dual_add_f32 v13, v7, v9 :: v_dual_mov_b32 v7, v4
	v_pk_add_f32 v[8:9], v[4:5], v[12:13]
	v_pk_add_f32 v[10:11], v[4:5], v[12:13] neg_lo:[0,1] neg_hi:[0,1]
	s_delay_alu instid0(VALU_DEP_2) | instskip(NEXT) | instid1(VALU_DEP_1)
	v_mov_b32_e32 v11, v9
	v_pk_add_f32 v[14:15], v[6:7], v[10:11]
	v_pk_add_f32 v[6:7], v[6:7], v[10:11] neg_lo:[0,1] neg_hi:[0,1]
	s_delay_alu instid0(VALU_DEP_2) | instskip(NEXT) | instid1(VALU_DEP_1)
	v_dual_mov_b32 v12, v15 :: v_dual_mov_b32 v7, v15
	v_pk_add_f32 v[16:17], v[12:13], v[4:5] neg_lo:[0,1] neg_hi:[0,1]
	v_dual_mov_b32 v14, v9 :: v_dual_mov_b32 v5, v4
	s_delay_alu instid0(VALU_DEP_2) | instskip(SKIP_1) | instid1(VALU_DEP_2)
	v_dual_mov_b32 v4, v13 :: v_dual_mov_b32 v19, v16
	v_mov_b32_e32 v13, v16
	v_pk_add_f32 v[10:11], v[14:15], v[18:19] neg_lo:[0,1] neg_hi:[0,1]
	s_delay_alu instid0(VALU_DEP_2) | instskip(SKIP_1) | instid1(VALU_DEP_3)
	v_pk_add_f32 v[8:9], v[8:9], v[12:13] neg_lo:[0,1] neg_hi:[0,1]
	v_mov_b32_e32 v8, v6
	v_pk_add_f32 v[4:5], v[4:5], v[10:11] neg_lo:[0,1] neg_hi:[0,1]
	s_delay_alu instid0(VALU_DEP_1) | instskip(NEXT) | instid1(VALU_DEP_1)
	v_pk_add_f32 v[8:9], v[8:9], v[4:5]
	v_mov_b32_e32 v10, v9
	s_delay_alu instid0(VALU_DEP_1) | instskip(NEXT) | instid1(VALU_DEP_1)
	v_pk_add_f32 v[10:11], v[8:9], v[10:11]
	v_pk_add_f32 v[12:13], v[12:13], v[10:11]
	v_dual_mov_b32 v5, v10 :: v_dual_mul_f32 v10, 0.5, v1
	s_delay_alu instid0(VALU_DEP_2) | instskip(NEXT) | instid1(VALU_DEP_2)
	v_mov_b32_e32 v9, v12
	v_trunc_f32_e32 v11, v10
	s_delay_alu instid0(VALU_DEP_2) | instskip(NEXT) | instid1(VALU_DEP_2)
	v_pk_add_f32 v[14:15], v[8:9], v[6:7] neg_lo:[0,1] neg_hi:[0,1]
	v_cmp_neq_f32_e64 s7, v11, v10
	s_delay_alu instid0(VALU_DEP_2) | instskip(NEXT) | instid1(VALU_DEP_3)
	v_sub_f32_e32 v7, v8, v14
	v_pk_add_f32 v[4:5], v[4:5], v[14:15] neg_lo:[0,1] neg_hi:[0,1]
	s_delay_alu instid0(VALU_DEP_2) | instskip(NEXT) | instid1(VALU_DEP_1)
	v_sub_f32_e32 v6, v6, v7
	v_add_f32_e32 v4, v4, v6
	s_delay_alu instid0(VALU_DEP_1) | instskip(NEXT) | instid1(VALU_DEP_1)
	v_add_f32_e32 v5, v4, v5
	v_add_f32_e32 v6, v12, v5
	s_delay_alu instid0(VALU_DEP_1) | instskip(NEXT) | instid1(VALU_DEP_1)
	v_sub_f32_e32 v7, v6, v12
	v_sub_f32_e32 v7, v5, v7
	v_mul_f32_e32 v4, v1, v6
	s_delay_alu instid0(VALU_DEP_1) | instskip(NEXT) | instid1(VALU_DEP_1)
	v_fma_f32 v5, v1, v6, -v4
	v_fmac_f32_e32 v5, v1, v7
	v_cmp_class_f32_e64 vcc_lo, v4, 0x204
	v_trunc_f32_e32 v7, v1
	s_delay_alu instid0(VALU_DEP_3) | instskip(NEXT) | instid1(VALU_DEP_2)
	v_add_f32_e32 v6, v4, v5
	v_cmp_eq_f32_e64 s6, v7, v1
	s_delay_alu instid0(VALU_DEP_2) | instskip(NEXT) | instid1(VALU_DEP_1)
	v_cndmask_b32_e32 v9, v6, v4, vcc_lo
	v_cmp_eq_f32_e32 vcc_lo, 0x42b17218, v9
	v_cmp_neq_f32_e64 s9, 0x7f800000, |v9|
	v_cndmask_b32_e64 v7, 0, 0x37000000, vcc_lo
	v_cmp_o_f32_e32 vcc_lo, v3, v1
	s_delay_alu instid0(VALU_DEP_2) | instskip(NEXT) | instid1(VALU_DEP_1)
	v_sub_f32_e32 v8, v9, v7
	v_cmp_ngt_f32_e64 s10, 0xc2ce8ed0, v8
	v_cmp_nlt_f32_e64 s8, 0x42b17218, v8
	s_cbranch_scc1 .LBB0_3
; %bb.2:
	s_cmp_lt_f32 s17, 0x800000
	s_mul_f32 s3, s19, 0x40c90fdb
	s_cselect_b32 s2, 0x4f800000, 1.0
	s_delay_alu instid0(SALU_CYCLE_2) | instskip(SKIP_3) | instid1(SALU_CYCLE_1)
	v_div_scale_f32 v1, null, s3, s3, s18
	s_mul_f32 s2, s17, s2
	s_cselect_b32 s5, 0x41b17218, 0
	v_div_scale_f32 v5, vcc_lo, s18, s3, s18
	v_s_log_f32 s2, s2
	v_rcp_f32_e32 v3, v1
	v_nop
	v_xor_b32_e32 v1, 0x80000000, v1
	s_delay_alu instid0(TRANS32_DEP_1) | instid1(VALU_DEP_1)
	v_fma_f32 v4, v1, v3, 1.0
	s_delay_alu instid0(TRANS32_DEP_2) | instskip(SKIP_1) | instid1(SALU_CYCLE_2)
	s_mul_f32 s4, s2, 0x3f317217
	s_and_b32 s6, s2, 0x7fffffff
	s_xor_b32 s4, s4, 0x80000000
	s_delay_alu instid0(VALU_DEP_1) | instskip(SKIP_2) | instid1(SALU_CYCLE_2)
	v_fmac_f32_e32 v3, v4, v3
	s_fmamk_f32 s4, s2, 0x3f317217, s4
	s_cmp_lt_f32 s6, 0x7f800000
	s_fmamk_f32 s4, s2, 0x3377d1cf, s4
	s_delay_alu instid0(VALU_DEP_1) | instskip(NEXT) | instid1(SALU_CYCLE_2)
	v_mul_f32_e32 v4, v5, v3
	s_fmamk_f32 s4, s2, 0x3f317217, s4
	s_delay_alu instid0(VALU_DEP_1) | instskip(NEXT) | instid1(SALU_CYCLE_2)
	v_fma_f32 v6, v1, v4, v5
	s_cselect_b32 s6, s4, s2
	s_cmp_lt_f32 s16, 0x800000
	s_delay_alu instid0(VALU_DEP_1) | instskip(SKIP_3) | instid1(VALU_DEP_1)
	v_fmac_f32_e32 v4, v6, v3
	s_cselect_b32 s2, 0x4f800000, 1.0
	s_cselect_b32 s7, 0x41b17218, 0
	s_mul_f32 s2, s16, s2
	v_fmac_f32_e32 v5, v1, v4
	s_delay_alu instid0(SALU_CYCLE_2) | instskip(NEXT) | instid1(VALU_DEP_1)
	v_s_log_f32 s2, s2
	v_div_fmas_f32 v1, v5, v3, v4
	s_delay_alu instid0(VALU_DEP_1) | instskip(NEXT) | instid1(TRANS32_DEP_1)
	v_div_fixup_f32 v1, v1, s3, s18
	s_mul_f32 s4, s2, 0x3f317217
	s_delay_alu instid0(SALU_CYCLE_3) | instskip(NEXT) | instid1(VALU_DEP_1)
	s_xor_b32 s4, s4, 0x80000000
	v_readfirstlane_b32 s8, v1
	s_fmamk_f32 s4, s2, 0x3f317217, s4
	s_delay_alu instid0(SALU_CYCLE_3) | instskip(SKIP_1) | instid1(SALU_CYCLE_1)
	s_fmamk_f32 s3, s2, 0x3377d1cf, s4
	s_and_b32 s4, s2, 0x7fffffff
	s_cmp_lt_f32 s4, 0x7f800000
	s_delay_alu instid0(SALU_CYCLE_1) | instskip(NEXT) | instid1(SALU_CYCLE_3)
	s_fmamk_f32 s3, s2, 0x3f317217, s3
	s_cselect_b32 s2, s3, s2
	s_cmp_lt_f32 s8, 0x800000
	s_sub_f32 s7, s2, s7
	s_cselect_b32 s3, 0x4f800000, 1.0
	s_cselect_b32 s4, 0x41b17218, 0
	v_mul_f32_e32 v1, s3, v1
	s_load_b32 s3, s[0:1], 0x60
	s_delay_alu instid0(VALU_DEP_1) | instskip(SKIP_1) | instid1(TRANS32_DEP_1)
	v_log_f32_e32 v1, v1
	v_nop
	v_and_b32_e32 v4, 0x7fffffff, v1
	v_mul_f32_e32 v3, 0x3f317217, v1
	s_delay_alu instid0(VALU_DEP_2) | instskip(NEXT) | instid1(VALU_DEP_2)
	v_cmp_gt_f32_e32 vcc_lo, 0x7f800000, v4
	v_xor_b32_e32 v3, 0x80000000, v3
	s_wait_kmcnt 0x0
	s_mul_f32 s3, s3, 0x40c90fdb
	s_delay_alu instid0(SALU_CYCLE_3) | instskip(NEXT) | instid1(VALU_DEP_1)
	v_div_scale_f32 v4, null, s3, s3, s18
	v_rcp_f32_e32 v6, v4
	v_nop
	v_xor_b32_e32 v4, 0x80000000, v4
	s_delay_alu instid0(TRANS32_DEP_1) | instid1(VALU_DEP_1)
	v_fma_f32 v8, v4, v6, 1.0
	s_delay_alu instid0(VALU_DEP_1) | instskip(NEXT) | instid1(VALU_DEP_1)
	v_dual_fmac_f32 v3, 0x3f317217, v1 :: v_dual_fmac_f32 v6, v8, v6
	v_fmac_f32_e32 v3, 0x3377d1cf, v1
	s_delay_alu instid0(VALU_DEP_1) | instskip(NEXT) | instid1(VALU_DEP_1)
	v_fmac_f32_e32 v3, 0x3f317217, v1
	v_cndmask_b32_e32 v1, v1, v3, vcc_lo
	s_delay_alu instid0(VALU_DEP_1)
	v_subrev_f32_e32 v1, s4, v1
	s_cvt_f32_i32 s4, s20
	s_delay_alu instid0(VALU_DEP_1) | instid1(SALU_CYCLE_3)
	v_mul_f32_e32 v1, s4, v1
	s_delay_alu instid0(VALU_DEP_1) | instskip(NEXT) | instid1(VALU_DEP_1)
	v_div_scale_f32 v3, null, s7, s7, v1
	v_rcp_f32_e32 v5, v3
	v_nop
	v_xor_b32_e32 v3, 0x80000000, v3
	s_delay_alu instid0(TRANS32_DEP_1) | instid1(VALU_DEP_1)
	v_fma_f32 v7, v3, v5, 1.0
	s_delay_alu instid0(VALU_DEP_1) | instskip(SKIP_1) | instid1(VALU_DEP_1)
	v_fmac_f32_e32 v5, v7, v5
	v_div_scale_f32 v7, s2, s18, s3, s18
	v_mul_f32_e32 v10, v7, v6
	s_delay_alu instid0(VALU_DEP_1) | instskip(SKIP_1) | instid1(VALU_DEP_2)
	v_fma_f32 v12, v4, v10, v7
	v_div_scale_f32 v9, vcc_lo, v1, s7, v1
	v_fmac_f32_e32 v10, v12, v6
	s_delay_alu instid0(VALU_DEP_1) | instskip(NEXT) | instid1(VALU_DEP_1)
	v_dual_fmac_f32 v7, v4, v10 :: v_dual_mul_f32 v8, v9, v5
	v_fma_f32 v11, v3, v8, v9
	s_delay_alu instid0(VALU_DEP_1) | instskip(NEXT) | instid1(VALU_DEP_1)
	v_fmac_f32_e32 v8, v11, v5
	v_fmac_f32_e32 v9, v3, v8
	s_delay_alu instid0(VALU_DEP_1) | instskip(SKIP_2) | instid1(VALU_DEP_1)
	v_div_fmas_f32 v3, v9, v5, v8
	s_mov_b32 vcc_lo, s2
	v_div_fmas_f32 v4, v7, v6, v10
	v_div_fixup_f32 v4, v4, s3, s18
	s_delay_alu instid0(VALU_DEP_1) | instskip(SKIP_2) | instid1(SALU_CYCLE_1)
	v_readfirstlane_b32 s2, v4
	s_cmp_lt_f32 s2, 0x800000
	s_cselect_b32 s2, 0x4f800000, 1.0
	v_mul_f32_e32 v4, s2, v4
	s_cselect_b32 s2, 0x41b17218, 0
	s_delay_alu instid0(VALU_DEP_1) | instskip(SKIP_1) | instid1(TRANS32_DEP_1)
	v_log_f32_e32 v4, v4
	v_nop
	v_mul_f32_e32 v5, 0x3f317217, v4
	v_and_b32_e32 v6, 0x7fffffff, v4
	s_delay_alu instid0(VALU_DEP_2) | instskip(NEXT) | instid1(VALU_DEP_2)
	v_xor_b32_e32 v5, 0x80000000, v5
	v_cmp_gt_f32_e32 vcc_lo, 0x7f800000, v6
	s_delay_alu instid0(VALU_DEP_2) | instskip(NEXT) | instid1(VALU_DEP_1)
	v_fmac_f32_e32 v5, 0x3f317217, v4
	v_fmac_f32_e32 v5, 0x3377d1cf, v4
	s_delay_alu instid0(VALU_DEP_1) | instskip(NEXT) | instid1(VALU_DEP_1)
	v_fmac_f32_e32 v5, 0x3f317217, v4
	v_cndmask_b32_e32 v4, v4, v5, vcc_lo
	s_delay_alu instid0(VALU_DEP_1) | instskip(NEXT) | instid1(VALU_DEP_1)
	v_subrev_f32_e32 v4, s2, v4
	v_mul_f32_e32 v5, s4, v4
	s_delay_alu instid0(VALU_DEP_1) | instskip(SKIP_1) | instid1(VALU_DEP_2)
	v_div_scale_f32 v4, null, s7, s7, v5
	v_div_scale_f32 v8, vcc_lo, v5, s7, v5
	v_rcp_f32_e32 v6, v4
	v_nop
	v_xor_b32_e32 v4, 0x80000000, v4
	s_delay_alu instid0(TRANS32_DEP_1) | instid1(VALU_DEP_1)
	v_fma_f32 v7, v4, v6, 1.0
	s_delay_alu instid0(VALU_DEP_1) | instskip(NEXT) | instid1(VALU_DEP_1)
	v_fmac_f32_e32 v6, v7, v6
	v_mul_f32_e32 v7, v8, v6
	s_delay_alu instid0(VALU_DEP_1) | instskip(NEXT) | instid1(VALU_DEP_1)
	v_fma_f32 v9, v4, v7, v8
	v_fmac_f32_e32 v7, v9, v6
	s_delay_alu instid0(VALU_DEP_1) | instskip(SKIP_1) | instid1(VALU_DEP_2)
	v_fmac_f32_e32 v8, v4, v7
	v_div_fixup_f32 v4, v3, s7, v1
	v_div_fmas_f32 v6, v8, v6, v7
	s_delay_alu instid0(VALU_DEP_1) | instskip(NEXT) | instid1(VALU_DEP_1)
	v_div_fixup_f32 v3, v6, s7, v5
	v_pk_add_f32 v[4:5], v[2:3], v[4:5] op_sel_hi:[1,0] neg_lo:[0,1] neg_hi:[0,1]
	v_add_f32_e32 v2, v2, v2
	s_delay_alu instid0(VALU_DEP_2) | instskip(NEXT) | instid1(VALU_DEP_2)
	v_div_scale_f32 v1, null, v5, v5, v4
	v_div_scale_f32 v3, null, s11, s11, v2
	v_div_scale_f32 v10, vcc_lo, v4, v5, v4
	s_delay_alu instid0(VALU_DEP_3) | instskip(NEXT) | instid1(VALU_DEP_2)
	v_rcp_f32_e32 v6, v1
	v_rcp_f32_e32 v7, v3
	s_delay_alu instid0(TRANS32_DEP_2) | instskip(NEXT) | instid1(TRANS32_DEP_1)
	v_fma_f32 v8, -v1, v6, 1.0
	v_fma_f32 v9, -v3, v7, 1.0
	s_delay_alu instid0(VALU_DEP_2) | instskip(SKIP_1) | instid1(VALU_DEP_2)
	v_fmac_f32_e32 v6, v8, v6
	v_div_scale_f32 v8, s2, v2, s11, v2
	v_dual_fmac_f32 v7, v9, v7 :: v_dual_mul_f32 v9, v10, v6
	s_delay_alu instid0(VALU_DEP_1) | instskip(NEXT) | instid1(VALU_DEP_1)
	v_dual_mul_f32 v11, v8, v7 :: v_dual_fma_f32 v12, -v1, v9, v10
	v_dual_fma_f32 v13, -v3, v11, v8 :: v_dual_fmac_f32 v9, v12, v6
	s_delay_alu instid0(VALU_DEP_1) | instskip(NEXT) | instid1(VALU_DEP_1)
	v_fmac_f32_e32 v11, v13, v7
	v_dual_fma_f32 v1, -v1, v9, v10 :: v_dual_fma_f32 v3, -v3, v11, v8
	s_delay_alu instid0(VALU_DEP_1) | instskip(SKIP_1) | instid1(VALU_DEP_2)
	v_div_fmas_f32 v1, v1, v6, v9
	s_mov_b32 vcc_lo, s2
	v_div_fmas_f32 v3, v3, v7, v11
	s_delay_alu instid0(VALU_DEP_2) | instskip(NEXT) | instid1(VALU_DEP_2)
	v_div_fixup_f32 v1, v1, v5, v4 clamp
	v_div_fixup_f32 v2, v3, s11, v2
	s_delay_alu instid0(VALU_DEP_2) | instskip(NEXT) | instid1(VALU_DEP_2)
	v_sub_f32_e32 v4, 1.0, v1
	v_cndmask_b32_e64 v2, v2, 1.0, s21
	s_delay_alu instid0(VALU_DEP_1) | instskip(SKIP_2) | instid1(VALU_DEP_1)
	v_cmp_neq_f32_e32 vcc_lo, 0, v2
	v_cmp_neq_f32_e64 s7, v2, |v2|
	v_cndmask_b32_e64 v3, 1.0, s16, vcc_lo
	v_frexp_mant_f32_e64 v6, |v3|
	v_cmp_lt_f32_e64 s8, |v3|, 1.0
	v_cmp_eq_f32_e64 s4, 0, v3
	s_delay_alu instid0(VALU_DEP_3) | instskip(SKIP_2) | instid1(VALU_DEP_1)
	v_cmp_gt_f32_e32 vcc_lo, 0x3f2aaaab, v6
	s_xor_b32 s7, s7, s8
	v_cndmask_b32_e64 v7, 1.0, 2.0, vcc_lo
	v_mul_f32_e32 v6, v6, v7
	s_delay_alu instid0(VALU_DEP_1) | instskip(NEXT) | instid1(VALU_DEP_1)
	v_dual_add_f32 v9, 1.0, v6 :: v_dual_add_f32 v7, -1.0, v6
	v_rcp_f32_e32 v12, v9
	v_add_f32_e32 v10, -1.0, v9
	s_delay_alu instid0(TRANS32_DEP_1) | instid1(VALU_DEP_1)
	v_dual_sub_f32 v6, v6, v10 :: v_dual_mul_f32 v13, v7, v12
	s_delay_alu instid0(VALU_DEP_1) | instskip(NEXT) | instid1(VALU_DEP_1)
	v_mul_f32_e32 v8, v9, v13
	v_fma_f32 v10, v13, v9, -v8
	s_delay_alu instid0(VALU_DEP_1) | instskip(NEXT) | instid1(VALU_DEP_1)
	v_fmac_f32_e32 v10, v13, v6
	v_add_f32_e32 v6, v8, v10
	s_delay_alu instid0(VALU_DEP_1) | instskip(NEXT) | instid1(VALU_DEP_1)
	v_dual_sub_f32 v9, v7, v6 :: v_dual_mov_b32 v11, v6
	v_pk_add_f32 v[6:7], v[6:7], v[8:9] neg_lo:[0,1] neg_hi:[0,1]
	s_delay_alu instid0(VALU_DEP_1) | instskip(NEXT) | instid1(VALU_DEP_1)
	v_pk_add_f32 v[6:7], v[6:7], v[10:11] neg_lo:[0,1] neg_hi:[0,1]
	v_add_f32_e32 v6, v6, v7
	s_delay_alu instid0(VALU_DEP_1) | instskip(NEXT) | instid1(VALU_DEP_1)
	v_add_f32_e32 v6, v9, v6
	v_mul_f32_e32 v7, v12, v6
	s_delay_alu instid0(VALU_DEP_1) | instskip(NEXT) | instid1(VALU_DEP_1)
	v_add_f32_e32 v6, v13, v7
	v_sub_f32_e32 v8, v6, v13
	s_delay_alu instid0(VALU_DEP_1) | instskip(NEXT) | instid1(VALU_DEP_1)
	v_sub_f32_e32 v18, v7, v8
	v_add_f32_e32 v8, v18, v18
	v_mul_f32_e32 v9, v6, v6
	s_delay_alu instid0(VALU_DEP_1) | instskip(NEXT) | instid1(VALU_DEP_1)
	v_fma_f32 v7, v6, v6, -v9
	v_fmac_f32_e32 v7, v6, v8
	s_delay_alu instid0(VALU_DEP_1) | instskip(NEXT) | instid1(VALU_DEP_1)
	v_add_f32_e32 v8, v9, v7
	v_dual_fmaak_f32 v10, s26, v8, 0x3e91f4c4 :: v_dual_sub_f32 v9, v8, v9
	s_delay_alu instid0(VALU_DEP_1) | instskip(SKIP_1) | instid1(VALU_DEP_2)
	v_fmaak_f32 v12, v8, v10, 0x3ecccdef
	v_cvt_f64_f32_e64 v[10:11], |v3|
	v_dual_mul_f32 v13, v8, v12 :: v_dual_sub_f32 v16, v7, v9
	s_delay_alu instid0(VALU_DEP_1) | instskip(NEXT) | instid1(VALU_DEP_1)
	v_fma_f32 v7, v8, v12, -v13
	v_fmac_f32_e32 v7, v16, v12
	s_delay_alu instid0(VALU_DEP_1) | instskip(NEXT) | instid1(VALU_DEP_1)
	v_add_f32_e32 v9, v13, v7
	v_sub_f32_e32 v12, v9, v13
	v_add_f32_e32 v13, 0x3f2aaaaa, v9
	s_delay_alu instid0(VALU_DEP_1) | instskip(SKIP_1) | instid1(VALU_DEP_2)
	v_dual_sub_f32 v7, v7, v12 :: v_dual_add_f32 v12, 0xbf2aaaaa, v13
	v_frexp_exp_i32_f64_e32 v17, v[10:11]
	v_add_f32_e32 v7, 0x31739010, v7
	s_delay_alu instid0(VALU_DEP_3) | instskip(NEXT) | instid1(VALU_DEP_1)
	v_sub_f32_e32 v9, v9, v12
	v_pk_mul_f32 v[10:11], v[6:7], v[8:9]
	s_delay_alu instid0(VALU_DEP_1) | instskip(NEXT) | instid1(VALU_DEP_1)
	v_fma_f32 v12, v8, v6, -v10
	v_fmac_f32_e32 v12, v8, v18
	s_delay_alu instid0(VALU_DEP_1) | instskip(SKIP_1) | instid1(VALU_DEP_1)
	v_fmac_f32_e32 v12, v16, v6
	v_pk_add_f32 v[14:15], v[6:7], v[8:9]
	v_mov_b32_e32 v11, v15
	v_subrev_co_ci_u32_e64 v7, null, 0, v17, vcc_lo
	s_delay_alu instid0(VALU_DEP_2) | instskip(NEXT) | instid1(VALU_DEP_2)
	v_pk_add_f32 v[8:9], v[10:11], v[12:13]
	v_cvt_f32_i32_e32 v7, v7
	s_delay_alu instid0(VALU_DEP_2) | instskip(NEXT) | instid1(VALU_DEP_3)
	v_mov_b32_e32 v14, v9
	v_dual_sub_f32 v11, v13, v9 :: v_dual_sub_f32 v13, v8, v10
	s_delay_alu instid0(VALU_DEP_2) | instskip(NEXT) | instid1(VALU_DEP_2)
	v_pk_mul_f32 v[16:17], v[8:9], v[14:15]
	v_sub_f32_e32 v12, v12, v13
	s_delay_alu instid0(VALU_DEP_2) | instskip(NEXT) | instid1(VALU_DEP_1)
	v_dual_fma_f32 v10, v8, v9, -v16 :: v_dual_add_f32 v11, v15, v11
	v_fmac_f32_e32 v10, v8, v11
	s_delay_alu instid0(VALU_DEP_1) | instskip(SKIP_2) | instid1(VALU_DEP_3)
	v_fmac_f32_e32 v10, v12, v9
	v_mul_f32_e32 v14, 0x3f317218, v7
	v_ldexp_f32 v9, v6, 1
	v_add_f32_e32 v15, v16, v10
	s_delay_alu instid0(VALU_DEP_3) | instskip(NEXT) | instid1(VALU_DEP_2)
	v_fma_f32 v8, 0x3f317218, v7, -v14
	v_dual_mov_b32 v17, v9 :: v_dual_mov_b32 v12, v15
	s_delay_alu instid0(VALU_DEP_2) | instskip(NEXT) | instid1(VALU_DEP_1)
	v_fmac_f32_e32 v8, 0xb102e308, v7
	v_pk_add_f32 v[6:7], v[14:15], v[8:9]
	v_ldexp_f32 v9, v18, 1
	s_delay_alu instid0(VALU_DEP_2) | instskip(NEXT) | instid1(VALU_DEP_1)
	v_dual_mov_b32 v11, v15 :: v_dual_mov_b32 v13, v7
	v_pk_add_f32 v[12:13], v[12:13], v[16:17] neg_lo:[0,1] neg_hi:[0,1]
	s_delay_alu instid0(VALU_DEP_1) | instskip(NEXT) | instid1(VALU_DEP_1)
	v_pk_add_f32 v[10:11], v[10:11], v[12:13] neg_lo:[0,1] neg_hi:[0,1]
	v_add_f32_e32 v9, v9, v10
	s_delay_alu instid0(VALU_DEP_1) | instskip(NEXT) | instid1(VALU_DEP_1)
	v_dual_add_f32 v15, v9, v11 :: v_dual_mov_b32 v9, v6
	v_pk_add_f32 v[10:11], v[6:7], v[14:15]
	v_pk_add_f32 v[12:13], v[6:7], v[14:15] neg_lo:[0,1] neg_hi:[0,1]
	s_delay_alu instid0(VALU_DEP_2) | instskip(NEXT) | instid1(VALU_DEP_1)
	v_dual_mov_b32 v20, v7 :: v_dual_mov_b32 v13, v11
	v_pk_add_f32 v[16:17], v[8:9], v[12:13]
	s_delay_alu instid0(VALU_DEP_1) | instskip(SKIP_1) | instid1(VALU_DEP_2)
	v_dual_mov_b32 v16, v11 :: v_dual_mov_b32 v14, v17
	v_pk_add_f32 v[8:9], v[8:9], v[12:13] neg_lo:[0,1] neg_hi:[0,1]
	v_pk_add_f32 v[18:19], v[14:15], v[6:7] neg_lo:[0,1] neg_hi:[0,1]
	v_dual_mov_b32 v7, v6 :: v_dual_mov_b32 v6, v15
	s_delay_alu instid0(VALU_DEP_2) | instskip(NEXT) | instid1(VALU_DEP_1)
	v_dual_mov_b32 v15, v18 :: v_dual_mov_b32 v21, v18
	v_pk_add_f32 v[10:11], v[10:11], v[14:15] neg_lo:[0,1] neg_hi:[0,1]
	s_delay_alu instid0(VALU_DEP_2) | instskip(SKIP_1) | instid1(VALU_DEP_2)
	v_pk_add_f32 v[12:13], v[16:17], v[20:21] neg_lo:[0,1] neg_hi:[0,1]
	v_mov_b32_e32 v10, v8
	v_pk_add_f32 v[6:7], v[6:7], v[12:13] neg_lo:[0,1] neg_hi:[0,1]
	s_delay_alu instid0(VALU_DEP_1) | instskip(NEXT) | instid1(VALU_DEP_1)
	v_pk_add_f32 v[10:11], v[10:11], v[6:7]
	v_mov_b32_e32 v12, v11
	s_delay_alu instid0(VALU_DEP_1) | instskip(NEXT) | instid1(VALU_DEP_1)
	v_pk_add_f32 v[12:13], v[10:11], v[12:13]
	v_pk_add_f32 v[14:15], v[14:15], v[12:13]
	s_delay_alu instid0(VALU_DEP_1) | instskip(NEXT) | instid1(VALU_DEP_1)
	v_dual_mov_b32 v9, v17 :: v_dual_mov_b32 v11, v14
	v_pk_add_f32 v[16:17], v[10:11], v[8:9] neg_lo:[0,1] neg_hi:[0,1]
	s_delay_alu instid0(VALU_DEP_1) | instskip(NEXT) | instid1(VALU_DEP_1)
	v_dual_mov_b32 v7, v12 :: v_dual_sub_f32 v9, v10, v16
	v_pk_add_f32 v[6:7], v[6:7], v[16:17] neg_lo:[0,1] neg_hi:[0,1]
	s_delay_alu instid0(VALU_DEP_2) | instskip(NEXT) | instid1(VALU_DEP_1)
	v_sub_f32_e32 v8, v8, v9
	v_add_f32_e32 v6, v6, v8
	s_delay_alu instid0(VALU_DEP_1) | instskip(NEXT) | instid1(VALU_DEP_1)
	v_add_f32_e32 v6, v6, v7
	v_add_f32_e32 v7, v14, v6
	s_delay_alu instid0(VALU_DEP_1) | instskip(NEXT) | instid1(VALU_DEP_1)
	v_sub_f32_e32 v8, v7, v14
	v_sub_f32_e32 v6, v6, v8
	v_mul_f32_e32 v9, v2, v7
	s_delay_alu instid0(VALU_DEP_1) | instskip(NEXT) | instid1(VALU_DEP_1)
	v_fma_f32 v7, v2, v7, -v9
	v_fmac_f32_e32 v7, v2, v6
	v_cmp_class_f32_e64 vcc_lo, v9, 0x204
	s_delay_alu instid0(VALU_DEP_2) | instskip(NEXT) | instid1(VALU_DEP_1)
	v_add_f32_e32 v6, v9, v7
	v_cndmask_b32_e32 v8, v6, v9, vcc_lo
	s_delay_alu instid0(VALU_DEP_1) | instskip(NEXT) | instid1(VALU_DEP_4)
	v_cmp_eq_f32_e32 vcc_lo, 0x42b17218, v8
	v_cndmask_b32_e64 v10, 0, 0x37000000, vcc_lo
	s_delay_alu instid0(VALU_DEP_1) | instskip(NEXT) | instid1(VALU_DEP_1)
	v_sub_f32_e32 v11, v8, v10
	v_mul_f32_e32 v12, 0x3fb8aa3b, v11
	s_delay_alu instid0(VALU_DEP_1) | instskip(SKIP_1) | instid1(VALU_DEP_1)
	v_fma_f32 v13, 0x3fb8aa3b, v11, -v12
	v_rndne_f32_e32 v14, v12
	v_dual_fmac_f32 v13, 0x32a5705f, v11 :: v_dual_sub_f32 v12, v12, v14
	v_cmp_neq_f32_e64 vcc_lo, 0x7f800000, |v8|
	v_trunc_f32_e32 v8, v2
	s_delay_alu instid0(VALU_DEP_3) | instskip(SKIP_1) | instid1(VALU_DEP_2)
	v_add_f32_e32 v12, v12, v13
	v_sub_f32_e32 v6, v6, v9
	v_exp_f32_e32 v9, v12
	v_nop
	v_cvt_i32_f32_e32 v12, v14
	s_delay_alu instid0(VALU_DEP_3)
	v_sub_f32_e32 v6, v7, v6
	s_delay_alu instid0(TRANS32_DEP_1) | instid1(VALU_DEP_2)
	v_ldexp_f32 v7, v9, v12
	v_mul_f32_e32 v9, 0.5, v2
	s_delay_alu instid0(VALU_DEP_3) | instskip(SKIP_1) | instid1(VALU_DEP_3)
	v_cndmask_b32_e32 v6, 0, v6, vcc_lo
	v_cmp_ngt_f32_e32 vcc_lo, 0xc2ce8ed0, v11
	v_trunc_f32_e32 v12, v9
	v_cndmask_b32_e32 v7, 0, v7, vcc_lo
	v_cmp_nlt_f32_e32 vcc_lo, 0x42b17218, v11
	s_delay_alu instid0(VALU_DEP_3) | instskip(NEXT) | instid1(VALU_DEP_3)
	v_cmp_neq_f32_e64 s2, v12, v9
	v_cndmask_b32_e32 v7, 0x7f800000, v7, vcc_lo
	v_cmp_eq_f32_e32 vcc_lo, v8, v2
	s_delay_alu instid0(VALU_DEP_2) | instskip(SKIP_1) | instid1(SALU_CYCLE_1)
	v_cmp_class_f32_e64 s3, v7, 0x204
	s_and_b32 s2, vcc_lo, s2
	v_dual_cndmask_b32 v8, 1.0, v3, s2 :: v_dual_add_f32 v6, v10, v6
	v_cndmask_b32_e64 v10, 0, v3, s2
	v_cmp_class_f32_e64 s2, v3, 0x204
	s_delay_alu instid0(VALU_DEP_3) | instskip(NEXT) | instid1(VALU_DEP_1)
	v_fma_f32 v6, v7, v6, v7
	v_cndmask_b32_e64 v6, v6, v7, s3
	v_cndmask_b32_e64 v7, 0x7f800000, 0, s7
	v_cmp_gt_f32_e64 s3, 0, v2
	s_delay_alu instid0(VALU_DEP_3) | instskip(SKIP_1) | instid1(SALU_CYCLE_1)
	v_bfi_b32 v6, 0x7fffffff, v6, v8
	s_xor_b32 s3, s3, s4
	v_cndmask_b32_e64 v8, 0x7f800000, 0, s3
	s_delay_alu instid0(VALU_DEP_2)
	v_cndmask_b32_e32 v9, 0x7fc00000, v6, vcc_lo
	v_cmp_neq_f32_e64 vcc_lo, |v3|, 1.0
	s_sub_f32 s3, s6, s5
	v_bfi_b32 v8, 0x7fffffff, v8, v10
	v_cndmask_b32_e32 v7, 1.0, v7, vcc_lo
	v_cmp_gt_f32_e32 vcc_lo, 0, v3
	v_dual_mov_b32 v5, s3 :: v_dual_cndmask_b32 v6, v6, v9
	v_cmp_class_f32_e64 vcc_lo, v2, 0x204
	s_delay_alu instid0(VALU_DEP_2) | instskip(SKIP_1) | instid1(VALU_DEP_1)
	v_cndmask_b32_e32 v6, v6, v7, vcc_lo
	s_or_b32 vcc_lo, s4, s2
	v_cndmask_b32_e32 v6, v6, v8, vcc_lo
	v_cmp_o_f32_e32 vcc_lo, v3, v2
	s_delay_alu instid0(VALU_DEP_2) | instskip(NEXT) | instid1(VALU_DEP_1)
	v_cndmask_b32_e32 v2, 0x7fc00000, v6, vcc_lo
	v_mul_f32_e32 v3, s17, v2
	v_div_scale_f32 v7, null, v2, v2, 1.0
	s_delay_alu instid0(VALU_DEP_2) | instskip(NEXT) | instid1(VALU_DEP_2)
	v_div_scale_f32 v6, null, v3, v3, 1.0
	v_rcp_f32_e32 v9, v7
	v_div_scale_f32 v12, vcc_lo, 1.0, v3, 1.0
	s_delay_alu instid0(VALU_DEP_2) | instskip(NEXT) | instid1(TRANS32_DEP_2)
	v_rcp_f32_e32 v8, v6
	v_fma_f32 v11, -v7, v9, 1.0
	s_delay_alu instid0(TRANS32_DEP_1) | instskip(NEXT) | instid1(VALU_DEP_1)
	v_fma_f32 v10, -v6, v8, 1.0
	v_dual_fmac_f32 v9, v11, v9 :: v_dual_fmac_f32 v8, v10, v8
	v_div_scale_f32 v10, s2, 1.0, v2, 1.0
	s_delay_alu instid0(VALU_DEP_1) | instskip(NEXT) | instid1(VALU_DEP_1)
	v_dual_mul_f32 v11, v12, v8 :: v_dual_mul_f32 v13, v10, v9
	v_dual_fma_f32 v15, -v7, v13, v10 :: v_dual_fma_f32 v14, -v6, v11, v12
	s_delay_alu instid0(VALU_DEP_1) | instskip(NEXT) | instid1(VALU_DEP_1)
	v_dual_fmac_f32 v13, v15, v9 :: v_dual_fmac_f32 v11, v14, v8
	v_dual_fma_f32 v7, -v7, v13, v10 :: v_dual_fma_f32 v6, -v6, v11, v12
	s_delay_alu instid0(VALU_DEP_1) | instskip(SKIP_1) | instid1(VALU_DEP_2)
	v_div_fmas_f32 v6, v6, v8, v11
	s_mov_b32 vcc_lo, s2
	v_div_fmas_f32 v7, v7, v9, v13
	s_delay_alu instid0(VALU_DEP_2) | instskip(SKIP_1) | instid1(VALU_DEP_3)
	v_div_fixup_f32 v6, v6, v3, 1.0
	v_mov_b32_e32 v3, 0x3dcccccd
	v_div_fixup_f32 v2, v7, v2, 1.0
	s_delay_alu instid0(VALU_DEP_3) | instskip(NEXT) | instid1(VALU_DEP_1)
	v_dual_mov_b32 v7, 1.0 :: v_dual_mul_f32 v6, v1, v6
	v_pk_fma_f32 v[2:3], v[4:5], v[2:3], v[6:7]
	s_branch .LBB0_4
.LBB0_3:
	v_mul_f32_e32 v2, 0x3fb8aa3b, v8
	v_sub_f32_e32 v4, v6, v4
	s_and_b32 s7, s6, s7
	s_xor_b32 s3, s3, s2
	s_delay_alu instid0(VALU_DEP_2) | instskip(SKIP_2) | instid1(VALU_DEP_2)
	v_fma_f32 v9, 0x3fb8aa3b, v8, -v2
	v_rndne_f32_e32 v10, v2
	v_dual_sub_f32 v4, v5, v4 :: v_dual_cndmask_b32 v5, 1.0, v3, s7
	v_dual_fmac_f32 v9, 0x32a5705f, v8 :: v_dual_sub_f32 v2, v2, v10
	v_cvt_i32_f32_e32 v6, v10
	s_delay_alu instid0(VALU_DEP_2) | instskip(NEXT) | instid1(VALU_DEP_1)
	v_dual_cndmask_b32 v4, 0, v4, s9 :: v_dual_add_f32 v2, v2, v9
	v_dual_add_f32 v4, v7, v4 :: v_dual_cndmask_b32 v7, 0, v3, s7
	s_delay_alu instid0(VALU_DEP_2) | instskip(SKIP_1) | instid1(TRANS32_DEP_1)
	v_exp_f32_e32 v2, v2
	v_nop
	v_ldexp_f32 v2, v2, v6
	v_cndmask_b32_e64 v6, 0x7f800000, 0, s3
	v_cmp_class_f32_e64 s3, v1, 0x204
	s_delay_alu instid0(VALU_DEP_3) | instskip(NEXT) | instid1(VALU_DEP_1)
	v_cndmask_b32_e64 v2, 0, v2, s10
	v_cndmask_b32_e64 v2, 0x7f800000, v2, s8
	s_delay_alu instid0(VALU_DEP_1) | instskip(SKIP_1) | instid1(VALU_DEP_1)
	v_fma_f32 v4, v2, v4, v2
	v_cmp_class_f32_e64 s8, v2, 0x204
	v_cndmask_b32_e64 v2, v4, v2, s8
	s_xor_b32 s8, s27, s28
	s_delay_alu instid0(SALU_CYCLE_1) | instskip(NEXT) | instid1(VALU_DEP_1)
	v_cndmask_b32_e64 v4, 0x7f800000, 0, s8
	v_cndmask_b32_e64 v4, 1.0, v4, s5
	s_delay_alu instid0(VALU_DEP_3) | instskip(NEXT) | instid1(VALU_DEP_1)
	v_bfi_b32 v2, 0x7fffffff, v2, v5
	v_cndmask_b32_e64 v5, 0x7fc00000, v2, s6
	s_delay_alu instid0(VALU_DEP_1) | instskip(SKIP_2) | instid1(VALU_DEP_3)
	v_cndmask_b32_e64 v2, v2, v5, s4
	v_cmp_class_f32_e64 s4, v3, 0x204
	v_bfi_b32 v3, 0x7fffffff, v6, v7
	v_cndmask_b32_e64 v1, v2, v4, s3
	s_or_b32 s2, s2, s4
	s_delay_alu instid0(VALU_DEP_1) | instid1(SALU_CYCLE_1)
	v_dual_cndmask_b32 v1, v1, v3, s2 :: v_dual_mov_b32 v3, 1.0
	s_delay_alu instid0(VALU_DEP_1)
	v_cndmask_b32_e32 v2, 0x7fc00000, v1, vcc_lo
.LBB0_4:
	s_wait_kmcnt 0x0
	s_cvt_f32_i32 s2, s12
                                        ; implicit-def: $vgpr5
                                        ; implicit-def: $vgpr4
	s_mov_b32 s3, exec_lo
	s_delay_alu instid0(VALU_DEP_1) | instid1(SALU_CYCLE_2)
	v_mul_f32_e32 v1, s2, v2
	s_delay_alu instid0(VALU_DEP_1)
	v_and_b32_e32 v2, 0x7fffffff, v1
	v_cmpx_ngt_f32_e64 0x48000000, |v1|
	s_xor_b32 s4, exec_lo, s3
	s_cbranch_execz .LBB0_6
; %bb.5:
	s_mov_b32 s2, 0x7fffff
	v_mov_b32_e32 v5, 0
	v_and_or_b32 v4, v2, s2, 0x800000
	s_mov_b64 s[2:3], 0xfe5163ab
	s_delay_alu instid0(VALU_DEP_1) | instid1(SALU_CYCLE_1)
	v_mul_u64_e32 v[6:7], s[2:3], v[4:5]
	s_delay_alu instid0(VALU_DEP_1) | instskip(SKIP_2) | instid1(VALU_DEP_3)
	v_dual_mov_b32 v8, v7 :: v_dual_mov_b32 v9, v5
	v_dual_mov_b32 v11, v5 :: v_dual_mov_b32 v13, v5
	v_dual_mov_b32 v15, v5 :: v_dual_lshrrev_b32 v7, 23, v2
	v_mad_nc_u64_u32 v[8:9], 0x3c439041, v4, v[8:9]
	s_delay_alu instid0(VALU_DEP_1) | instskip(NEXT) | instid1(VALU_DEP_1)
	v_mov_b32_e32 v10, v9
	v_mad_nc_u64_u32 v[10:11], 0xdb629599, v4, v[10:11]
	s_delay_alu instid0(VALU_DEP_1) | instskip(NEXT) | instid1(VALU_DEP_1)
	v_mov_b32_e32 v12, v11
	;; [unrolled: 3-line block ×3, first 2 shown]
	v_mad_nc_u64_u32 v[14:15], 0xfc2757d1, v4, v[14:15]
	s_delay_alu instid0(VALU_DEP_1) | instskip(NEXT) | instid1(VALU_DEP_1)
	v_dual_mov_b32 v17, v5 :: v_dual_mov_b32 v16, v15
	v_mad_nc_u64_u32 v[16:17], 0x4e441529, v4, v[16:17]
	s_delay_alu instid0(VALU_DEP_1) | instskip(NEXT) | instid1(VALU_DEP_1)
	v_dual_mov_b32 v18, v17 :: v_dual_add_nc_u32 v7, 0xffffff88, v7
	v_cmp_lt_u32_e32 vcc_lo, 63, v7
	v_mov_b32_e32 v19, v5
	v_cndmask_b32_e64 v9, 0, 0xffffffc0, vcc_lo
	s_delay_alu instid0(VALU_DEP_2) | instskip(SKIP_1) | instid1(VALU_DEP_3)
	v_mad_nc_u64_u32 v[4:5], 0xa2f9836e, v4, v[18:19]
	v_dual_cndmask_b32 v11, v16, v12, vcc_lo :: v_dual_cndmask_b32 v13, v14, v10, vcc_lo
	v_dual_cndmask_b32 v8, v12, v8 :: v_dual_add_nc_u32 v7, v9, v7
	v_cndmask_b32_e32 v6, v10, v6, vcc_lo
	s_delay_alu instid0(VALU_DEP_2) | instskip(SKIP_1) | instid1(VALU_DEP_2)
	v_cmp_lt_u32_e64 s2, 31, v7
	v_dual_cndmask_b32 v4, v4, v14 :: v_dual_cndmask_b32 v5, v5, v16
	v_cndmask_b32_e64 v9, 0, 0xffffffe0, s2
	s_delay_alu instid0(VALU_DEP_4) | instskip(NEXT) | instid1(VALU_DEP_2)
	v_dual_cndmask_b32 v12, v13, v8, s2 :: v_dual_cndmask_b32 v6, v8, v6, s2
	v_add_nc_u32_e32 v7, v9, v7
	s_delay_alu instid0(VALU_DEP_1) | instskip(NEXT) | instid1(VALU_DEP_1)
	v_cmp_lt_u32_e64 s3, 31, v7
	v_cndmask_b32_e64 v9, 0, 0xffffffe0, s3
	s_delay_alu instid0(VALU_DEP_1) | instskip(SKIP_1) | instid1(VALU_DEP_2)
	v_dual_cndmask_b32 v6, v12, v6, s3 :: v_dual_add_nc_u32 v7, v9, v7
	v_dual_cndmask_b32 v9, v4, v11, s2 :: v_dual_cndmask_b32 v4, v5, v4, s2
	v_dual_cndmask_b32 v5, v11, v13, s2 :: v_dual_sub_nc_u32 v11, 32, v7
	v_cmp_eq_u32_e32 vcc_lo, 0, v7
	s_delay_alu instid0(VALU_DEP_3) | instskip(NEXT) | instid1(VALU_DEP_3)
	v_cndmask_b32_e64 v4, v4, v9, s3
	v_cndmask_b32_e64 v9, v9, v5, s3
	;; [unrolled: 1-line block ×3, first 2 shown]
	s_delay_alu instid0(VALU_DEP_2) | instskip(NEXT) | instid1(VALU_DEP_2)
	v_alignbit_b32 v13, v4, v9, v11
	v_alignbit_b32 v10, v9, v5, v11
	;; [unrolled: 1-line block ×3, first 2 shown]
	s_delay_alu instid0(VALU_DEP_2) | instskip(NEXT) | instid1(VALU_DEP_2)
	v_dual_cndmask_b32 v4, v13, v4 :: v_dual_cndmask_b32 v7, v10, v9
	v_cndmask_b32_e32 v5, v11, v5, vcc_lo
	s_delay_alu instid0(VALU_DEP_2) | instskip(NEXT) | instid1(VALU_DEP_3)
	v_bfe_u32 v8, v4, 29, 1
	v_alignbit_b32 v9, v4, v7, 30
	s_delay_alu instid0(VALU_DEP_3) | instskip(SKIP_1) | instid1(VALU_DEP_4)
	v_alignbit_b32 v7, v7, v5, 30
	v_alignbit_b32 v5, v5, v6, 30
	v_sub_nc_u32_e32 v10, 0, v8
	s_delay_alu instid0(VALU_DEP_1) | instskip(NEXT) | instid1(VALU_DEP_4)
	v_xor_b32_e32 v9, v9, v10
	v_xor_b32_e32 v6, v7, v10
	s_delay_alu instid0(VALU_DEP_4) | instskip(NEXT) | instid1(VALU_DEP_3)
	v_dual_lshrrev_b32 v10, 29, v4 :: v_dual_bitop2_b32 v5, v5, v10 bitop3:0x14
	v_clz_i32_u32_e32 v11, v9
	s_delay_alu instid0(VALU_DEP_1) | instskip(NEXT) | instid1(VALU_DEP_1)
	v_min_u32_e32 v11, 32, v11
	v_dual_sub_nc_u32 v7, 31, v11 :: v_dual_lshlrev_b32 v12, 23, v11
	s_delay_alu instid0(VALU_DEP_1) | instskip(SKIP_2) | instid1(VALU_DEP_2)
	v_alignbit_b32 v9, v9, v6, v7
	v_alignbit_b32 v5, v6, v5, v7
	v_lshlrev_b32_e32 v6, 31, v10
	v_alignbit_b32 v7, v9, v5, 9
	s_delay_alu instid0(VALU_DEP_2) | instskip(SKIP_1) | instid1(VALU_DEP_3)
	v_dual_lshrrev_b32 v9, 9, v9 :: v_dual_bitop2_b32 v10, 0.5, v6 bitop3:0x54
	v_or_b32_e32 v6, 0x33000000, v6
	v_clz_i32_u32_e32 v13, v7
	s_delay_alu instid0(VALU_DEP_3) | instskip(NEXT) | instid1(VALU_DEP_2)
	v_sub_nc_u32_e32 v10, v10, v12
	v_min_u32_e32 v12, 32, v13
	s_delay_alu instid0(VALU_DEP_1) | instskip(NEXT) | instid1(VALU_DEP_3)
	v_add_lshl_u32 v11, v12, v11, 23
	v_or_b32_e32 v9, v9, v10
	v_not_b32_e32 v10, v12
	s_delay_alu instid0(VALU_DEP_2) | instskip(NEXT) | instid1(VALU_DEP_2)
	v_dual_mul_f32 v13, 0x3fc90fda, v9 :: v_dual_sub_nc_u32 v6, v6, v11
	v_alignbit_b32 v5, v7, v5, v10
	s_delay_alu instid0(VALU_DEP_2) | instskip(NEXT) | instid1(VALU_DEP_2)
	v_fma_f32 v7, 0x3fc90fda, v9, -v13
	v_lshrrev_b32_e32 v5, 9, v5
	s_delay_alu instid0(VALU_DEP_2) | instskip(NEXT) | instid1(VALU_DEP_2)
	v_fmamk_f32 v7, v9, 0x33a22168, v7
	v_or_b32_e32 v5, v6, v5
	s_delay_alu instid0(VALU_DEP_1) | instskip(NEXT) | instid1(VALU_DEP_1)
	v_fmac_f32_e32 v7, 0x3fc90fda, v5
	v_dual_add_f32 v4, v13, v7 :: v_dual_lshrrev_b32 v5, 30, v4
	s_delay_alu instid0(VALU_DEP_1)
	v_add_nc_u32_e32 v5, v8, v5
.LBB0_6:
	s_and_not1_saveexec_b32 s2, s4
; %bb.7:
	v_mul_f32_e64 v4, 0x3f22f983, |v1|
	s_delay_alu instid0(VALU_DEP_1) | instskip(NEXT) | instid1(VALU_DEP_1)
	v_rndne_f32_e32 v5, v4
	v_fma_f32 v4, 0xbfc90fda, v5, |v1|
	s_delay_alu instid0(VALU_DEP_1) | instskip(NEXT) | instid1(VALU_DEP_1)
	v_fmamk_f32 v4, v5, 0xb3a22168, v4
	v_fmamk_f32 v4, v5, 0xa7c234c4, v4
	v_cvt_i32_f32_e32 v5, v5
; %bb.8:
	s_or_b32 exec_lo, exec_lo, s2
	s_delay_alu instid0(VALU_DEP_1) | instskip(SKIP_3) | instid1(VALU_DEP_1)
	v_dual_mul_f32 v6, v4, v4 :: v_dual_bitop2_b32 v9, 1, v5 bitop3:0x40
	s_mov_b32 s2, 0xb94c1982
	s_load_b128 s[4:7], s[0:1], 0x70
	s_cmp_lt_i32 s13, 1
	v_fmaak_f32 v7, s2, v6, 0x3c0881c4
	s_mov_b32 s2, 0x37d75334
	v_cmp_eq_u32_e32 vcc_lo, 0, v9
	v_lshlrev_b32_e32 v5, 30, v5
	v_xor_b32_e32 v2, v2, v1
	v_fmaak_f32 v7, v6, v7, 0xbe2aaa9d
	s_delay_alu instid0(VALU_DEP_1) | instskip(NEXT) | instid1(VALU_DEP_1)
	v_dual_fmaak_f32 v8, s2, v6, 0xbab64f3b :: v_dual_mul_f32 v7, v6, v7
	v_fmaak_f32 v8, v6, v8, 0x3d2aabf7
	s_delay_alu instid0(VALU_DEP_2) | instskip(NEXT) | instid1(VALU_DEP_2)
	v_fmac_f32_e32 v4, v4, v7
	v_fmaak_f32 v8, v6, v8, 0xbf000004
	s_delay_alu instid0(VALU_DEP_2) | instskip(NEXT) | instid1(VALU_DEP_2)
	v_xor_b32_e32 v7, 0x80000000, v4
	v_fma_f32 v6, v6, v8, 1.0
	v_and_b32_e32 v8, 0x80000000, v5
	s_delay_alu instid0(VALU_DEP_2) | instskip(SKIP_1) | instid1(VALU_DEP_2)
	v_dual_cndmask_b32 v4, v6, v4, vcc_lo :: v_dual_cndmask_b32 v6, v7, v6, vcc_lo
	v_cmp_class_f32_e64 vcc_lo, v1, 0x1f8
	v_xor3_b32 v2, v2, v4, v8
	s_delay_alu instid0(VALU_DEP_3) | instskip(NEXT) | instid1(VALU_DEP_2)
	v_bitop3_b32 v4, v6, v5, 0x80000000 bitop3:0x78
	v_cndmask_b32_e32 v2, 0x7fc00000, v2, vcc_lo
	s_delay_alu instid0(VALU_DEP_2) | instskip(NEXT) | instid1(VALU_DEP_1)
	v_cndmask_b32_e32 v1, 0x7fc00000, v4, vcc_lo
	v_dual_mul_f32 v5, v3, v2 :: v_dual_mul_f32 v4, v3, v1
	v_ashrrev_i32_e32 v1, 31, v0
	s_cbranch_scc1 .LBB0_11
; %bb.9:
	s_load_b64 s[2:3], s[0:1], 0x0
	s_mul_i32 s8, s15, s13
	s_ashr_i32 s21, s20, 31
	s_ashr_i32 s9, s8, 31
	s_delay_alu instid0(SALU_CYCLE_1) | instskip(NEXT) | instid1(SALU_CYCLE_1)
	s_mul_u64 s[8:9], s[8:9], s[24:25]
	s_lshl_b64 s[8:9], s[8:9], 2
	s_wait_kmcnt 0x0
	s_add_nc_u64 s[2:3], s[2:3], s[8:9]
	s_ashr_i32 s9, s15, 31
	v_lshl_add_u64 v[2:3], v[0:1], 2, s[2:3]
	s_mov_b32 s8, s15
	s_delay_alu instid0(SALU_CYCLE_1)
	s_lshl_b64 s[2:3], s[8:9], 2
	s_lshl_b64 s[8:9], s[20:21], 2
.LBB0_10:                               ; =>This Inner Loop Header: Depth=1
	s_wait_xcnt 0x0
	v_add_nc_u64_e32 v[6:7], s[8:9], v[2:3]
	s_add_co_i32 s13, s13, -1
	s_clause 0x1
	global_load_b32 v8, v[2:3], off
	global_load_b32 v9, v[6:7], off
	s_cmp_eq_u32 s13, 0
	s_wait_loadcnt 0x1
	v_mul_f32_e32 v10, v4, v8
	s_wait_loadcnt 0x0
	s_delay_alu instid0(VALU_DEP_1) | instskip(SKIP_1) | instid1(VALU_DEP_1)
	v_fma_f32 v10, -v9, v5, v10
	v_mul_f32_e32 v9, v4, v9
	v_fmac_f32_e32 v9, v8, v5
	global_store_b32 v[2:3], v10, off
	s_wait_xcnt 0x0
	v_add_nc_u64_e32 v[2:3], s[2:3], v[2:3]
	global_store_b32 v[6:7], v9, off
	s_cbranch_scc0 .LBB0_10
.LBB0_11:
	s_load_b64 s[2:3], s[0:1], 0x24
	s_wait_kmcnt 0x0
	s_ashr_i32 s9, s3, 31
	s_mov_b32 s8, s3
	s_delay_alu instid0(SALU_CYCLE_1) | instskip(NEXT) | instid1(SALU_CYCLE_1)
	s_lshl_b64 s[10:11], s[8:9], 2
	s_add_nc_u64 s[6:7], s[6:7], s[10:11]
	s_add_nc_u64 s[4:5], s[4:5], s[10:11]
	s_load_b32 s3, s[6:7], 0x0
	s_wait_kmcnt 0x0
	s_cmp_lg_u32 s3, 0
	s_load_b32 s4, s[4:5], 0x0
	s_cbranch_scc0 .LBB0_13
; %bb.12:
	s_wait_kmcnt 0x0
	s_abs_i32 s3, s4
	s_abs_i32 s7, s12
	s_cvt_f32_u32 s5, s3
	s_sub_co_i32 s6, 0, s3
	s_delay_alu instid0(SALU_CYCLE_2) | instskip(SKIP_1) | instid1(TRANS32_DEP_1)
	v_rcp_iflag_f32_e32 v2, s5
	v_nop
	v_readfirstlane_b32 s5, v2
	s_mul_f32 s5, s5, 0x4f7ffffe
	s_delay_alu instid0(SALU_CYCLE_3) | instskip(NEXT) | instid1(SALU_CYCLE_3)
	s_cvt_u32_f32 s5, s5
	s_mul_i32 s6, s6, s5
	s_delay_alu instid0(SALU_CYCLE_1) | instskip(NEXT) | instid1(SALU_CYCLE_1)
	s_mul_hi_u32 s6, s5, s6
	s_add_co_i32 s5, s5, s6
	s_ashr_i32 s6, s12, 31
	s_mul_hi_u32 s5, s7, s5
	s_delay_alu instid0(SALU_CYCLE_1) | instskip(NEXT) | instid1(SALU_CYCLE_1)
	s_mul_i32 s5, s5, s3
	s_sub_co_i32 s5, s7, s5
	s_delay_alu instid0(SALU_CYCLE_1) | instskip(SKIP_2) | instid1(SALU_CYCLE_1)
	s_sub_co_i32 s7, s5, s3
	s_cmp_ge_u32 s5, s3
	s_cselect_b32 s5, s7, s5
	s_sub_co_i32 s7, s5, s3
	s_cmp_ge_u32 s5, s3
	s_cselect_b32 s3, s7, s5
	s_delay_alu instid0(SALU_CYCLE_1) | instskip(NEXT) | instid1(SALU_CYCLE_1)
	s_xor_b32 s3, s3, s6
	s_sub_co_i32 s12, s3, s6
.LBB0_13:
	s_cmp_lt_i32 s14, 1
	s_cbranch_scc1 .LBB0_20
; %bb.14:
	s_clause 0x2
	s_load_b64 s[6:7], s[0:1], 0x40
	s_load_b64 s[10:11], s[0:1], 0x68
	s_load_b32 s19, s[0:1], 0x38
	s_lshl_b64 s[8:9], s[8:9], 3
	s_mov_b32 s18, s15
	s_wait_kmcnt 0x0
	s_add_nc_u64 s[6:7], s[6:7], s[22:23]
	s_add_nc_u64 s[8:9], s[10:11], s[8:9]
	s_load_b32 s6, s[6:7], 0x0
	s_nop 0
	s_load_b64 s[10:11], s[8:9], 0x0
	s_load_b64 s[16:17], s[0:1], 0x8
	s_cmp_lg_u32 s19, 0
	s_wait_xcnt 0x0
	s_cselect_b32 s8, -1, 0
	s_ashr_i32 s5, s4, 31
	s_ashr_i32 s13, s12, 31
	;; [unrolled: 1-line block ×3, first 2 shown]
	s_wait_kmcnt 0x0
	s_ashr_i32 s7, s6, 31
	s_cmp_eq_u32 s19, 0
	s_mul_u64 s[0:1], s[4:5], s[6:7]
	s_delay_alu instid0(SALU_CYCLE_1) | instskip(NEXT) | instid1(SALU_CYCLE_1)
	s_add_nc_u64 s[0:1], s[0:1], s[12:13]
	s_mul_u64 s[0:1], s[0:1], s[2:3]
	s_cselect_b32 s2, 2, 1
	s_add_nc_u64 s[0:1], s[0:1], s[10:11]
	s_ashr_i32 s19, s15, 31
	s_lshl_b64 s[0:1], s[0:1], s2
	s_ashr_i32 s21, s20, 31
	s_add_nc_u64 s[2:3], s[16:17], s[0:1]
	s_lshl_b64 s[0:1], s[18:19], 2
	v_lshl_add_u64 v[2:3], v[0:1], 1, s[2:3]
	v_lshl_add_u64 v[0:1], v[0:1], 2, s[2:3]
	s_lshl_b64 s[2:3], s[20:21], 2
	s_lshl_b64 s[4:5], s[18:19], 1
	;; [unrolled: 1-line block ×3, first 2 shown]
	s_branch .LBB0_16
.LBB0_15:                               ;   in Loop: Header=BB0_16 Depth=1
	s_wait_xcnt 0x1
	v_add_nc_u64_e32 v[0:1], s[0:1], v[0:1]
	v_add_nc_u64_e32 v[2:3], s[4:5], v[2:3]
	s_add_co_i32 s14, s14, -1
	s_delay_alu instid0(SALU_CYCLE_1)
	s_cmp_lg_u32 s14, 0
	s_cbranch_scc0 .LBB0_20
.LBB0_16:                               ; =>This Inner Loop Header: Depth=1
	s_and_not1_b32 vcc_lo, exec_lo, s8
	s_mov_b32 s9, -1
	s_cbranch_vccnz .LBB0_18
; %bb.17:                               ;   in Loop: Header=BB0_16 Depth=1
	s_wait_xcnt 0x0
	v_add_nc_u64_e32 v[6:7], s[6:7], v[2:3]
	s_mov_b32 s9, 0
	s_clause 0x1
	global_load_u16 v8, v[2:3], off
	global_load_u16 v9, v[6:7], off
	s_wait_loadcnt 0x0
	v_dual_lshlrev_b32 v10, 16, v8 :: v_dual_lshlrev_b32 v11, 16, v9
	s_delay_alu instid0(VALU_DEP_1) | instskip(NEXT) | instid1(VALU_DEP_1)
	v_dual_mul_f32 v10, v4, v10 :: v_dual_mul_f32 v11, v4, v11
	v_fma_mixlo_bf16 v9, -v9, v5, v10 op_sel_hi:[1,0,0]
	s_delay_alu instid0(VALU_DEP_2)
	v_fma_mixlo_bf16 v8, v8, v5, v11 op_sel_hi:[1,0,0]
	s_clause 0x1
	global_store_b16 v[2:3], v9, off
	global_store_b16 v[6:7], v8, off
.LBB0_18:                               ;   in Loop: Header=BB0_16 Depth=1
	s_and_not1_b32 vcc_lo, exec_lo, s9
	s_cbranch_vccnz .LBB0_15
; %bb.19:                               ;   in Loop: Header=BB0_16 Depth=1
	s_wait_xcnt 0x0
	v_add_nc_u64_e32 v[6:7], s[2:3], v[0:1]
	s_clause 0x1
	global_load_b32 v8, v[0:1], off
	global_load_b32 v9, v[6:7], off
	s_wait_loadcnt 0x0
	v_dual_mul_f32 v10, v4, v8 :: v_dual_mul_f32 v11, v4, v9
	s_delay_alu instid0(VALU_DEP_1)
	v_dual_fma_f32 v9, -v9, v5, v10 :: v_dual_fmac_f32 v11, v8, v5
	s_clause 0x1
	global_store_b32 v[0:1], v9, off
	global_store_b32 v[6:7], v11, off
	s_branch .LBB0_15
.LBB0_20:
	s_endpgm
	.section	.rodata,"a",@progbits
	.p2align	6, 0x0
	.amdhsa_kernel _Z14rope_qk_kernelPfPviiiiiiiPKiiS2_xfffffPKxS2_S2_
		.amdhsa_group_segment_fixed_size 0
		.amdhsa_private_segment_fixed_size 0
		.amdhsa_kernarg_size 384
		.amdhsa_user_sgpr_count 2
		.amdhsa_user_sgpr_dispatch_ptr 0
		.amdhsa_user_sgpr_queue_ptr 0
		.amdhsa_user_sgpr_kernarg_segment_ptr 1
		.amdhsa_user_sgpr_dispatch_id 0
		.amdhsa_user_sgpr_kernarg_preload_length 0
		.amdhsa_user_sgpr_kernarg_preload_offset 0
		.amdhsa_user_sgpr_private_segment_size 0
		.amdhsa_wavefront_size32 1
		.amdhsa_uses_dynamic_stack 0
		.amdhsa_enable_private_segment 0
		.amdhsa_system_sgpr_workgroup_id_x 1
		.amdhsa_system_sgpr_workgroup_id_y 1
		.amdhsa_system_sgpr_workgroup_id_z 0
		.amdhsa_system_sgpr_workgroup_info 0
		.amdhsa_system_vgpr_workitem_id 0
		.amdhsa_next_free_vgpr 22
		.amdhsa_next_free_sgpr 29
		.amdhsa_named_barrier_count 0
		.amdhsa_reserve_vcc 1
		.amdhsa_float_round_mode_32 0
		.amdhsa_float_round_mode_16_64 0
		.amdhsa_float_denorm_mode_32 3
		.amdhsa_float_denorm_mode_16_64 3
		.amdhsa_fp16_overflow 0
		.amdhsa_memory_ordered 1
		.amdhsa_forward_progress 1
		.amdhsa_inst_pref_size 49
		.amdhsa_round_robin_scheduling 0
		.amdhsa_exception_fp_ieee_invalid_op 0
		.amdhsa_exception_fp_denorm_src 0
		.amdhsa_exception_fp_ieee_div_zero 0
		.amdhsa_exception_fp_ieee_overflow 0
		.amdhsa_exception_fp_ieee_underflow 0
		.amdhsa_exception_fp_ieee_inexact 0
		.amdhsa_exception_int_div_zero 0
	.end_amdhsa_kernel
	.text
.Lfunc_end0:
	.size	_Z14rope_qk_kernelPfPviiiiiiiPKiiS2_xfffffPKxS2_S2_, .Lfunc_end0-_Z14rope_qk_kernelPfPviiiiiiiPKiiS2_xfffffPKxS2_S2_
                                        ; -- End function
	.set _Z14rope_qk_kernelPfPviiiiiiiPKiiS2_xfffffPKxS2_S2_.num_vgpr, 22
	.set _Z14rope_qk_kernelPfPviiiiiiiPKiiS2_xfffffPKxS2_S2_.num_agpr, 0
	.set _Z14rope_qk_kernelPfPviiiiiiiPKiiS2_xfffffPKxS2_S2_.numbered_sgpr, 29
	.set _Z14rope_qk_kernelPfPviiiiiiiPKiiS2_xfffffPKxS2_S2_.num_named_barrier, 0
	.set _Z14rope_qk_kernelPfPviiiiiiiPKiiS2_xfffffPKxS2_S2_.private_seg_size, 0
	.set _Z14rope_qk_kernelPfPviiiiiiiPKiiS2_xfffffPKxS2_S2_.uses_vcc, 1
	.set _Z14rope_qk_kernelPfPviiiiiiiPKiiS2_xfffffPKxS2_S2_.uses_flat_scratch, 0
	.set _Z14rope_qk_kernelPfPviiiiiiiPKiiS2_xfffffPKxS2_S2_.has_dyn_sized_stack, 0
	.set _Z14rope_qk_kernelPfPviiiiiiiPKiiS2_xfffffPKxS2_S2_.has_recursion, 0
	.set _Z14rope_qk_kernelPfPviiiiiiiPKiiS2_xfffffPKxS2_S2_.has_indirect_call, 0
	.section	.AMDGPU.csdata,"",@progbits
; Kernel info:
; codeLenInByte = 6228
; TotalNumSgprs: 31
; NumVgprs: 22
; ScratchSize: 0
; MemoryBound: 0
; FloatMode: 240
; IeeeMode: 1
; LDSByteSize: 0 bytes/workgroup (compile time only)
; SGPRBlocks: 0
; VGPRBlocks: 1
; NumSGPRsForWavesPerEU: 31
; NumVGPRsForWavesPerEU: 22
; NamedBarCnt: 0
; Occupancy: 16
; WaveLimiterHint : 0
; COMPUTE_PGM_RSRC2:SCRATCH_EN: 0
; COMPUTE_PGM_RSRC2:USER_SGPR: 2
; COMPUTE_PGM_RSRC2:TRAP_HANDLER: 0
; COMPUTE_PGM_RSRC2:TGID_X_EN: 1
; COMPUTE_PGM_RSRC2:TGID_Y_EN: 1
; COMPUTE_PGM_RSRC2:TGID_Z_EN: 0
; COMPUTE_PGM_RSRC2:TIDIG_COMP_CNT: 0
	.text
	.p2alignl 7, 3214868480
	.fill 96, 4, 3214868480
	.section	.AMDGPU.gpr_maximums,"",@progbits
	.set amdgpu.max_num_vgpr, 0
	.set amdgpu.max_num_agpr, 0
	.set amdgpu.max_num_sgpr, 0
	.text
	.type	__hip_cuid_bcd2f3d4f5fc0d47,@object ; @__hip_cuid_bcd2f3d4f5fc0d47
	.section	.bss,"aw",@nobits
	.globl	__hip_cuid_bcd2f3d4f5fc0d47
__hip_cuid_bcd2f3d4f5fc0d47:
	.byte	0                               ; 0x0
	.size	__hip_cuid_bcd2f3d4f5fc0d47, 1

	.ident	"AMD clang version 22.0.0git (https://github.com/RadeonOpenCompute/llvm-project roc-7.2.4 26084 f58b06dce1f9c15707c5f808fd002e18c2accf7e)"
	.section	".note.GNU-stack","",@progbits
	.addrsig
	.addrsig_sym __hip_cuid_bcd2f3d4f5fc0d47
	.amdgpu_metadata
---
amdhsa.kernels:
  - .args:
      - .address_space:  global
        .offset:         0
        .size:           8
        .value_kind:     global_buffer
      - .address_space:  global
        .offset:         8
        .size:           8
        .value_kind:     global_buffer
      - .offset:         16
        .size:           4
        .value_kind:     by_value
      - .offset:         20
        .size:           4
        .value_kind:     by_value
      - .offset:         24
        .size:           4
        .value_kind:     by_value
      - .offset:         28
        .size:           4
        .value_kind:     by_value
      - .offset:         32
        .size:           4
        .value_kind:     by_value
      - .offset:         36
        .size:           4
        .value_kind:     by_value
      - .offset:         40
        .size:           4
        .value_kind:     by_value
      - .actual_access:  read_only
        .address_space:  global
        .offset:         48
        .size:           8
        .value_kind:     global_buffer
      - .offset:         56
        .size:           4
        .value_kind:     by_value
      - .actual_access:  read_only
        .address_space:  global
        .offset:         64
        .size:           8
        .value_kind:     global_buffer
      - .offset:         72
        .size:           8
        .value_kind:     by_value
      - .offset:         80
        .size:           4
        .value_kind:     by_value
      - .offset:         84
        .size:           4
        .value_kind:     by_value
      - .offset:         88
        .size:           4
        .value_kind:     by_value
      - .offset:         92
        .size:           4
        .value_kind:     by_value
      - .offset:         96
        .size:           4
        .value_kind:     by_value
      - .actual_access:  read_only
        .address_space:  global
        .offset:         104
        .size:           8
        .value_kind:     global_buffer
      - .actual_access:  read_only
        .address_space:  global
        .offset:         112
        .size:           8
        .value_kind:     global_buffer
      - .actual_access:  read_only
        .address_space:  global
        .offset:         120
        .size:           8
        .value_kind:     global_buffer
      - .offset:         128
        .size:           4
        .value_kind:     hidden_block_count_x
      - .offset:         132
        .size:           4
        .value_kind:     hidden_block_count_y
      - .offset:         136
        .size:           4
        .value_kind:     hidden_block_count_z
      - .offset:         140
        .size:           2
        .value_kind:     hidden_group_size_x
      - .offset:         142
        .size:           2
        .value_kind:     hidden_group_size_y
      - .offset:         144
        .size:           2
        .value_kind:     hidden_group_size_z
      - .offset:         146
        .size:           2
        .value_kind:     hidden_remainder_x
      - .offset:         148
        .size:           2
        .value_kind:     hidden_remainder_y
      - .offset:         150
        .size:           2
        .value_kind:     hidden_remainder_z
      - .offset:         168
        .size:           8
        .value_kind:     hidden_global_offset_x
      - .offset:         176
        .size:           8
        .value_kind:     hidden_global_offset_y
      - .offset:         184
        .size:           8
        .value_kind:     hidden_global_offset_z
      - .offset:         192
        .size:           2
        .value_kind:     hidden_grid_dims
    .group_segment_fixed_size: 0
    .kernarg_segment_align: 8
    .kernarg_segment_size: 384
    .language:       OpenCL C
    .language_version:
      - 2
      - 0
    .max_flat_workgroup_size: 1024
    .name:           _Z14rope_qk_kernelPfPviiiiiiiPKiiS2_xfffffPKxS2_S2_
    .private_segment_fixed_size: 0
    .sgpr_count:     31
    .sgpr_spill_count: 0
    .symbol:         _Z14rope_qk_kernelPfPviiiiiiiPKiiS2_xfffffPKxS2_S2_.kd
    .uniform_work_group_size: 1
    .uses_dynamic_stack: false
    .vgpr_count:     22
    .vgpr_spill_count: 0
    .wavefront_size: 32
amdhsa.target:   amdgcn-amd-amdhsa--gfx1250
amdhsa.version:
  - 1
  - 2
...

	.end_amdgpu_metadata
